;; amdgpu-corpus repo=ROCm/rocFFT kind=compiled arch=gfx1201 opt=O3
	.text
	.amdgcn_target "amdgcn-amd-amdhsa--gfx1201"
	.amdhsa_code_object_version 6
	.protected	fft_rtc_fwd_len375_factors_5_5_5_3_wgs_125_tpt_25_halfLds_half_ip_CI_unitstride_sbrr_dirReg ; -- Begin function fft_rtc_fwd_len375_factors_5_5_5_3_wgs_125_tpt_25_halfLds_half_ip_CI_unitstride_sbrr_dirReg
	.globl	fft_rtc_fwd_len375_factors_5_5_5_3_wgs_125_tpt_25_halfLds_half_ip_CI_unitstride_sbrr_dirReg
	.p2align	8
	.type	fft_rtc_fwd_len375_factors_5_5_5_3_wgs_125_tpt_25_halfLds_half_ip_CI_unitstride_sbrr_dirReg,@function
fft_rtc_fwd_len375_factors_5_5_5_3_wgs_125_tpt_25_halfLds_half_ip_CI_unitstride_sbrr_dirReg: ; @fft_rtc_fwd_len375_factors_5_5_5_3_wgs_125_tpt_25_halfLds_half_ip_CI_unitstride_sbrr_dirReg
; %bb.0:
	s_load_b128 s[4:7], s[0:1], 0x0
	v_mul_u32_u24_e32 v1, 0xa3e, v0
	s_clause 0x1
	s_load_b64 s[8:9], s[0:1], 0x50
	s_load_b64 s[10:11], s[0:1], 0x18
	v_mov_b32_e32 v3, 0
	v_lshrrev_b32_e32 v1, 16, v1
	s_delay_alu instid0(VALU_DEP_1) | instskip(SKIP_3) | instid1(VALU_DEP_1)
	v_mad_co_u64_u32 v[5:6], null, ttmp9, 5, v[1:2]
	v_mov_b32_e32 v1, 0
	v_mov_b32_e32 v2, 0
	;; [unrolled: 1-line block ×3, first 2 shown]
	v_dual_mov_b32 v9, v6 :: v_dual_mov_b32 v8, v5
	s_wait_kmcnt 0x0
	v_cmp_lt_u64_e64 s2, s[6:7], 2
	s_delay_alu instid0(VALU_DEP_1)
	s_and_b32 vcc_lo, exec_lo, s2
	s_cbranch_vccnz .LBB0_8
; %bb.1:
	s_load_b64 s[2:3], s[0:1], 0x10
	v_mov_b32_e32 v7, v6
	v_dual_mov_b32 v1, 0 :: v_dual_mov_b32 v6, v5
	v_mov_b32_e32 v2, 0
	s_add_nc_u64 s[12:13], s[10:11], 8
	s_mov_b64 s[14:15], 1
	s_wait_kmcnt 0x0
	s_add_nc_u64 s[16:17], s[2:3], 8
	s_mov_b32 s3, 0
.LBB0_2:                                ; =>This Inner Loop Header: Depth=1
	s_load_b64 s[18:19], s[16:17], 0x0
                                        ; implicit-def: $vgpr8_vgpr9
	s_mov_b32 s2, exec_lo
	s_wait_kmcnt 0x0
	v_or_b32_e32 v4, s19, v7
	s_delay_alu instid0(VALU_DEP_1)
	v_cmpx_ne_u64_e32 0, v[3:4]
	s_wait_alu 0xfffe
	s_xor_b32 s20, exec_lo, s2
	s_cbranch_execz .LBB0_4
; %bb.3:                                ;   in Loop: Header=BB0_2 Depth=1
	s_cvt_f32_u32 s2, s18
	s_cvt_f32_u32 s21, s19
	s_sub_nc_u64 s[24:25], 0, s[18:19]
	s_wait_alu 0xfffe
	s_delay_alu instid0(SALU_CYCLE_1) | instskip(SKIP_1) | instid1(SALU_CYCLE_2)
	s_fmamk_f32 s2, s21, 0x4f800000, s2
	s_wait_alu 0xfffe
	v_s_rcp_f32 s2, s2
	s_delay_alu instid0(TRANS32_DEP_1) | instskip(SKIP_1) | instid1(SALU_CYCLE_2)
	s_mul_f32 s2, s2, 0x5f7ffffc
	s_wait_alu 0xfffe
	s_mul_f32 s21, s2, 0x2f800000
	s_wait_alu 0xfffe
	s_delay_alu instid0(SALU_CYCLE_2) | instskip(SKIP_1) | instid1(SALU_CYCLE_2)
	s_trunc_f32 s21, s21
	s_wait_alu 0xfffe
	s_fmamk_f32 s2, s21, 0xcf800000, s2
	s_cvt_u32_f32 s23, s21
	s_wait_alu 0xfffe
	s_delay_alu instid0(SALU_CYCLE_1) | instskip(SKIP_1) | instid1(SALU_CYCLE_2)
	s_cvt_u32_f32 s22, s2
	s_wait_alu 0xfffe
	s_mul_u64 s[26:27], s[24:25], s[22:23]
	s_wait_alu 0xfffe
	s_mul_hi_u32 s29, s22, s27
	s_mul_i32 s28, s22, s27
	s_mul_hi_u32 s2, s22, s26
	s_mul_i32 s30, s23, s26
	s_wait_alu 0xfffe
	s_add_nc_u64 s[28:29], s[2:3], s[28:29]
	s_mul_hi_u32 s21, s23, s26
	s_mul_hi_u32 s31, s23, s27
	s_add_co_u32 s2, s28, s30
	s_wait_alu 0xfffe
	s_add_co_ci_u32 s2, s29, s21
	s_mul_i32 s26, s23, s27
	s_add_co_ci_u32 s27, s31, 0
	s_wait_alu 0xfffe
	s_add_nc_u64 s[26:27], s[2:3], s[26:27]
	s_wait_alu 0xfffe
	v_add_co_u32 v4, s2, s22, s26
	s_delay_alu instid0(VALU_DEP_1) | instskip(SKIP_1) | instid1(VALU_DEP_1)
	s_cmp_lg_u32 s2, 0
	s_add_co_ci_u32 s23, s23, s27
	v_readfirstlane_b32 s22, v4
	s_wait_alu 0xfffe
	s_delay_alu instid0(VALU_DEP_1)
	s_mul_u64 s[24:25], s[24:25], s[22:23]
	s_wait_alu 0xfffe
	s_mul_hi_u32 s27, s22, s25
	s_mul_i32 s26, s22, s25
	s_mul_hi_u32 s2, s22, s24
	s_mul_i32 s28, s23, s24
	s_wait_alu 0xfffe
	s_add_nc_u64 s[26:27], s[2:3], s[26:27]
	s_mul_hi_u32 s21, s23, s24
	s_mul_hi_u32 s22, s23, s25
	s_wait_alu 0xfffe
	s_add_co_u32 s2, s26, s28
	s_add_co_ci_u32 s2, s27, s21
	s_mul_i32 s24, s23, s25
	s_add_co_ci_u32 s25, s22, 0
	s_wait_alu 0xfffe
	s_add_nc_u64 s[24:25], s[2:3], s[24:25]
	s_wait_alu 0xfffe
	v_add_co_u32 v4, s2, v4, s24
	s_delay_alu instid0(VALU_DEP_1) | instskip(SKIP_1) | instid1(VALU_DEP_1)
	s_cmp_lg_u32 s2, 0
	s_add_co_ci_u32 s2, s23, s25
	v_mul_hi_u32 v14, v6, v4
	s_wait_alu 0xfffe
	v_mad_co_u64_u32 v[8:9], null, v6, s2, 0
	v_mad_co_u64_u32 v[10:11], null, v7, v4, 0
	;; [unrolled: 1-line block ×3, first 2 shown]
	s_delay_alu instid0(VALU_DEP_3) | instskip(SKIP_1) | instid1(VALU_DEP_4)
	v_add_co_u32 v4, vcc_lo, v14, v8
	s_wait_alu 0xfffd
	v_add_co_ci_u32_e32 v8, vcc_lo, 0, v9, vcc_lo
	s_delay_alu instid0(VALU_DEP_2) | instskip(SKIP_1) | instid1(VALU_DEP_2)
	v_add_co_u32 v4, vcc_lo, v4, v10
	s_wait_alu 0xfffd
	v_add_co_ci_u32_e32 v4, vcc_lo, v8, v11, vcc_lo
	s_wait_alu 0xfffd
	v_add_co_ci_u32_e32 v8, vcc_lo, 0, v13, vcc_lo
	s_delay_alu instid0(VALU_DEP_2) | instskip(SKIP_1) | instid1(VALU_DEP_2)
	v_add_co_u32 v4, vcc_lo, v4, v12
	s_wait_alu 0xfffd
	v_add_co_ci_u32_e32 v10, vcc_lo, 0, v8, vcc_lo
	s_delay_alu instid0(VALU_DEP_2) | instskip(SKIP_1) | instid1(VALU_DEP_3)
	v_mul_lo_u32 v11, s19, v4
	v_mad_co_u64_u32 v[8:9], null, s18, v4, 0
	v_mul_lo_u32 v12, s18, v10
	s_delay_alu instid0(VALU_DEP_2) | instskip(NEXT) | instid1(VALU_DEP_2)
	v_sub_co_u32 v8, vcc_lo, v6, v8
	v_add3_u32 v9, v9, v12, v11
	s_delay_alu instid0(VALU_DEP_1) | instskip(SKIP_1) | instid1(VALU_DEP_1)
	v_sub_nc_u32_e32 v11, v7, v9
	s_wait_alu 0xfffd
	v_subrev_co_ci_u32_e64 v11, s2, s19, v11, vcc_lo
	v_add_co_u32 v12, s2, v4, 2
	s_wait_alu 0xf1ff
	v_add_co_ci_u32_e64 v13, s2, 0, v10, s2
	v_sub_co_u32 v14, s2, v8, s18
	v_sub_co_ci_u32_e32 v9, vcc_lo, v7, v9, vcc_lo
	s_wait_alu 0xf1ff
	v_subrev_co_ci_u32_e64 v11, s2, 0, v11, s2
	s_delay_alu instid0(VALU_DEP_3) | instskip(NEXT) | instid1(VALU_DEP_3)
	v_cmp_le_u32_e32 vcc_lo, s18, v14
	v_cmp_eq_u32_e64 s2, s19, v9
	s_wait_alu 0xfffd
	v_cndmask_b32_e64 v14, 0, -1, vcc_lo
	v_cmp_le_u32_e32 vcc_lo, s19, v11
	s_wait_alu 0xfffd
	v_cndmask_b32_e64 v15, 0, -1, vcc_lo
	v_cmp_le_u32_e32 vcc_lo, s18, v8
	;; [unrolled: 3-line block ×3, first 2 shown]
	s_wait_alu 0xfffd
	v_cndmask_b32_e64 v16, 0, -1, vcc_lo
	v_cmp_eq_u32_e32 vcc_lo, s19, v11
	s_wait_alu 0xf1ff
	s_delay_alu instid0(VALU_DEP_2)
	v_cndmask_b32_e64 v8, v16, v8, s2
	s_wait_alu 0xfffd
	v_cndmask_b32_e32 v11, v15, v14, vcc_lo
	v_add_co_u32 v14, vcc_lo, v4, 1
	s_wait_alu 0xfffd
	v_add_co_ci_u32_e32 v15, vcc_lo, 0, v10, vcc_lo
	s_delay_alu instid0(VALU_DEP_3) | instskip(SKIP_2) | instid1(VALU_DEP_3)
	v_cmp_ne_u32_e32 vcc_lo, 0, v11
	s_wait_alu 0xfffd
	v_cndmask_b32_e32 v11, v14, v12, vcc_lo
	v_cndmask_b32_e32 v9, v15, v13, vcc_lo
	v_cmp_ne_u32_e32 vcc_lo, 0, v8
	s_wait_alu 0xfffd
	s_delay_alu instid0(VALU_DEP_2)
	v_dual_cndmask_b32 v8, v4, v11 :: v_dual_cndmask_b32 v9, v10, v9
.LBB0_4:                                ;   in Loop: Header=BB0_2 Depth=1
	s_wait_alu 0xfffe
	s_and_not1_saveexec_b32 s2, s20
	s_cbranch_execz .LBB0_6
; %bb.5:                                ;   in Loop: Header=BB0_2 Depth=1
	v_cvt_f32_u32_e32 v4, s18
	s_sub_co_i32 s20, 0, s18
	s_delay_alu instid0(VALU_DEP_1) | instskip(NEXT) | instid1(TRANS32_DEP_1)
	v_rcp_iflag_f32_e32 v4, v4
	v_mul_f32_e32 v4, 0x4f7ffffe, v4
	s_delay_alu instid0(VALU_DEP_1) | instskip(SKIP_1) | instid1(VALU_DEP_1)
	v_cvt_u32_f32_e32 v4, v4
	s_wait_alu 0xfffe
	v_mul_lo_u32 v8, s20, v4
	s_delay_alu instid0(VALU_DEP_1) | instskip(NEXT) | instid1(VALU_DEP_1)
	v_mul_hi_u32 v8, v4, v8
	v_add_nc_u32_e32 v4, v4, v8
	s_delay_alu instid0(VALU_DEP_1) | instskip(NEXT) | instid1(VALU_DEP_1)
	v_mul_hi_u32 v4, v6, v4
	v_mul_lo_u32 v8, v4, s18
	s_delay_alu instid0(VALU_DEP_1) | instskip(NEXT) | instid1(VALU_DEP_1)
	v_sub_nc_u32_e32 v8, v6, v8
	v_subrev_nc_u32_e32 v10, s18, v8
	v_cmp_le_u32_e32 vcc_lo, s18, v8
	s_wait_alu 0xfffd
	s_delay_alu instid0(VALU_DEP_2) | instskip(NEXT) | instid1(VALU_DEP_1)
	v_dual_cndmask_b32 v8, v8, v10 :: v_dual_add_nc_u32 v9, 1, v4
	v_cndmask_b32_e32 v4, v4, v9, vcc_lo
	s_delay_alu instid0(VALU_DEP_2) | instskip(NEXT) | instid1(VALU_DEP_2)
	v_cmp_le_u32_e32 vcc_lo, s18, v8
	v_add_nc_u32_e32 v9, 1, v4
	s_wait_alu 0xfffd
	s_delay_alu instid0(VALU_DEP_1)
	v_dual_cndmask_b32 v8, v4, v9 :: v_dual_mov_b32 v9, v3
.LBB0_6:                                ;   in Loop: Header=BB0_2 Depth=1
	s_wait_alu 0xfffe
	s_or_b32 exec_lo, exec_lo, s2
	s_load_b64 s[20:21], s[12:13], 0x0
	s_delay_alu instid0(VALU_DEP_1)
	v_mul_lo_u32 v4, v9, s18
	v_mul_lo_u32 v12, v8, s19
	v_mad_co_u64_u32 v[10:11], null, v8, s18, 0
	s_add_nc_u64 s[14:15], s[14:15], 1
	s_add_nc_u64 s[12:13], s[12:13], 8
	s_wait_alu 0xfffe
	v_cmp_ge_u64_e64 s2, s[14:15], s[6:7]
	s_add_nc_u64 s[16:17], s[16:17], 8
	s_delay_alu instid0(VALU_DEP_2) | instskip(NEXT) | instid1(VALU_DEP_3)
	v_add3_u32 v4, v11, v12, v4
	v_sub_co_u32 v6, vcc_lo, v6, v10
	s_wait_alu 0xfffd
	s_delay_alu instid0(VALU_DEP_2) | instskip(SKIP_3) | instid1(VALU_DEP_2)
	v_sub_co_ci_u32_e32 v4, vcc_lo, v7, v4, vcc_lo
	s_and_b32 vcc_lo, exec_lo, s2
	s_wait_kmcnt 0x0
	v_mul_lo_u32 v7, s21, v6
	v_mul_lo_u32 v4, s20, v4
	v_mad_co_u64_u32 v[1:2], null, s20, v6, v[1:2]
	s_delay_alu instid0(VALU_DEP_1)
	v_add3_u32 v2, v7, v2, v4
	s_wait_alu 0xfffe
	s_cbranch_vccnz .LBB0_8
; %bb.7:                                ;   in Loop: Header=BB0_2 Depth=1
	v_dual_mov_b32 v6, v8 :: v_dual_mov_b32 v7, v9
	s_branch .LBB0_2
.LBB0_8:
	s_lshl_b64 s[2:3], s[6:7], 3
	v_mul_hi_u32 v6, 0xa3d70a4, v0
	s_wait_alu 0xfffe
	s_add_nc_u64 s[2:3], s[10:11], s[2:3]
                                        ; implicit-def: $vgpr7
                                        ; implicit-def: $vgpr16
                                        ; implicit-def: $vgpr13
                                        ; implicit-def: $vgpr17
                                        ; implicit-def: $vgpr10
                                        ; implicit-def: $vgpr11
                                        ; implicit-def: $vgpr12
                                        ; implicit-def: $vgpr21
                                        ; implicit-def: $vgpr25
                                        ; implicit-def: $vgpr22
                                        ; implicit-def: $vgpr19
                                        ; implicit-def: $vgpr23
                                        ; implicit-def: $vgpr18
                                        ; implicit-def: $vgpr24
                                        ; implicit-def: $vgpr20
                                        ; implicit-def: $vgpr14
                                        ; implicit-def: $vgpr30
                                        ; implicit-def: $vgpr29
                                        ; implicit-def: $vgpr31
                                        ; implicit-def: $vgpr27
                                        ; implicit-def: $vgpr32
                                        ; implicit-def: $vgpr26
                                        ; implicit-def: $vgpr33
                                        ; implicit-def: $vgpr28
                                        ; implicit-def: $vgpr15
	s_load_b64 s[2:3], s[2:3], 0x0
	s_load_b64 s[0:1], s[0:1], 0x20
	s_wait_kmcnt 0x0
	v_mul_lo_u32 v3, s2, v9
	v_mul_lo_u32 v4, s3, v8
	v_mad_co_u64_u32 v[1:2], null, s2, v8, v[1:2]
	v_cmp_gt_u64_e32 vcc_lo, s[0:1], v[8:9]
                                        ; implicit-def: $vgpr8
                                        ; implicit-def: $vgpr9
	s_delay_alu instid0(VALU_DEP_2) | instskip(SKIP_1) | instid1(VALU_DEP_2)
	v_add3_u32 v2, v4, v2, v3
	v_mul_u32_u24_e32 v3, 25, v6
                                        ; implicit-def: $vgpr6
                                        ; implicit-def: $vgpr4
	v_lshlrev_b64_e32 v[1:2], 2, v[1:2]
	s_delay_alu instid0(VALU_DEP_2)
	v_sub_nc_u32_e32 v3, v0, v3
                                        ; implicit-def: $vgpr0
	s_and_saveexec_b32 s1, vcc_lo
	s_cbranch_execz .LBB0_10
; %bb.9:
	v_mov_b32_e32 v4, 0
	s_delay_alu instid0(VALU_DEP_3) | instskip(NEXT) | instid1(VALU_DEP_2)
	v_add_co_u32 v0, s0, s8, v1
	v_lshlrev_b64_e32 v[6:7], 2, v[3:4]
	s_wait_alu 0xf1ff
	v_add_co_ci_u32_e64 v4, s0, s9, v2, s0
	s_delay_alu instid0(VALU_DEP_2) | instskip(SKIP_1) | instid1(VALU_DEP_2)
	v_add_co_u32 v8, s0, v0, v6
	s_wait_alu 0xf1ff
	v_add_co_ci_u32_e64 v9, s0, v4, v7, s0
	s_clause 0xe
	global_load_b32 v28, v[8:9], off offset:300
	global_load_b32 v26, v[8:9], off offset:600
	global_load_b32 v4, v[8:9], off
	global_load_b32 v27, v[8:9], off offset:900
	global_load_b32 v29, v[8:9], off offset:1200
	;; [unrolled: 1-line block ×12, first 2 shown]
	s_wait_loadcnt 0xe
	v_lshrrev_b32_e32 v33, 16, v28
	s_wait_loadcnt 0xd
	v_lshrrev_b32_e32 v32, 16, v26
	;; [unrolled: 2-line block ×15, first 2 shown]
.LBB0_10:
	s_wait_alu 0xfffe
	s_or_b32 exec_lo, exec_lo, s1
	v_mul_hi_u32 v34, 0xcccccccd, v5
	v_add_f16_e32 v36, v27, v26
	v_add_f16_e32 v35, v28, v4
	v_sub_f16_e32 v37, v33, v30
	v_add_f16_e32 v41, v29, v28
	v_sub_f16_e32 v38, v32, v31
	v_fma_f16 v36, -0.5, v36, v4
	v_add_f16_e32 v35, v26, v35
	v_lshrrev_b32_e32 v34, 2, v34
	v_fmac_f16_e32 v4, -0.5, v41
	v_add_f16_e32 v41, v33, v15
	v_fmamk_f16 v43, v37, 0x3b9c, v36
	v_fmac_f16_e32 v36, 0xbb9c, v37
	v_lshl_add_u32 v34, v34, 2, v34
	v_sub_f16_e32 v39, v28, v26
	v_sub_f16_e32 v40, v29, v27
	v_add_f16_e32 v35, v27, v35
	v_fmac_f16_e32 v43, 0x38b4, v38
	v_sub_nc_u32_e32 v5, v5, v34
	v_fmamk_f16 v34, v38, 0xbb9c, v4
	v_fmac_f16_e32 v36, 0xb8b4, v38
	v_add_f16_e32 v44, v31, v32
	v_fmac_f16_e32 v4, 0x3b9c, v38
	v_add_f16_e32 v38, v32, v41
	v_sub_f16_e32 v42, v26, v28
	v_add_f16_e32 v39, v40, v39
	v_add_f16_e32 v35, v29, v35
	v_sub_f16_e32 v40, v27, v29
	v_fma_f16 v41, -0.5, v44, v15
	v_sub_f16_e32 v28, v28, v29
	v_add_f16_e32 v29, v31, v38
	v_fmac_f16_e32 v43, 0x34f2, v39
	v_fmac_f16_e32 v34, 0x38b4, v37
	;; [unrolled: 1-line block ×4, first 2 shown]
	v_fmamk_f16 v37, v28, 0xbb9c, v41
	v_sub_f16_e32 v26, v26, v27
	v_sub_f16_e32 v27, v33, v32
	;; [unrolled: 1-line block ×3, first 2 shown]
	v_add_f16_e32 v39, v30, v33
	v_add_f16_e32 v29, v30, v29
	v_fmac_f16_e32 v41, 0x3b9c, v28
	v_sub_f16_e32 v32, v32, v33
	v_sub_f16_e32 v30, v31, v30
	v_add_f16_e32 v31, v19, v18
	v_add_f16_e32 v40, v40, v42
	v_fmac_f16_e32 v37, 0xb8b4, v26
	v_add_f16_e32 v27, v38, v27
	v_fmac_f16_e32 v15, -0.5, v39
	v_fmac_f16_e32 v41, 0x38b4, v26
	v_add_f16_e32 v30, v30, v32
	v_add_f16_e32 v32, v20, v0
	v_fma_f16 v31, -0.5, v31, v0
	v_sub_f16_e32 v38, v24, v21
	v_add_f16_e32 v44, v25, v20
	v_fmac_f16_e32 v34, 0x34f2, v40
	v_fmac_f16_e32 v4, 0x34f2, v40
	;; [unrolled: 1-line block ×3, first 2 shown]
	v_fmamk_f16 v33, v26, 0x3b9c, v15
	v_fmac_f16_e32 v41, 0x34f2, v27
	v_mul_f16_e32 v27, 0x34f2, v30
	v_add_f16_e32 v30, v18, v32
	v_fmamk_f16 v32, v38, 0x3b9c, v31
	v_sub_f16_e32 v39, v23, v22
	v_sub_f16_e32 v40, v20, v18
	;; [unrolled: 1-line block ×3, first 2 shown]
	v_fmac_f16_e32 v15, 0xbb9c, v26
	v_fmac_f16_e32 v0, -0.5, v44
	v_fmac_f16_e32 v31, 0xbb9c, v38
	v_add_f16_e32 v44, v24, v14
	v_fmac_f16_e32 v33, 0xb8b4, v28
	v_add_f16_e32 v26, v19, v30
	;; [unrolled: 2-line block ×3, first 2 shown]
	v_fmac_f16_e32 v15, 0x38b4, v28
	v_fmamk_f16 v28, v39, 0xbb9c, v0
	v_sub_f16_e32 v40, v18, v20
	v_sub_f16_e32 v42, v19, v25
	v_fmac_f16_e32 v31, 0xb8b4, v39
	v_add_f16_e32 v45, v22, v23
	v_fmac_f16_e32 v0, 0x3b9c, v39
	v_add_f16_e32 v39, v23, v44
	v_add_f16_e32 v26, v25, v26
	;; [unrolled: 1-line block ×3, first 2 shown]
	v_fma_f16 v42, -0.5, v45, v14
	v_sub_f16_e32 v20, v20, v25
	v_add_f16_e32 v25, v22, v39
	v_fmac_f16_e32 v32, 0x34f2, v30
	v_fmac_f16_e32 v28, 0x38b4, v38
	;; [unrolled: 1-line block ×4, first 2 shown]
	v_fmamk_f16 v30, v20, 0xbb9c, v42
	v_sub_f16_e32 v18, v18, v19
	v_sub_f16_e32 v19, v24, v23
	;; [unrolled: 1-line block ×3, first 2 shown]
	v_add_f16_e32 v39, v21, v24
	v_add_f16_e32 v25, v21, v25
	v_fmac_f16_e32 v42, 0x3b9c, v20
	v_sub_f16_e32 v23, v23, v24
	v_sub_f16_e32 v21, v22, v21
	v_add_f16_e32 v22, v13, v17
	v_fmac_f16_e32 v30, 0xb8b4, v18
	v_add_f16_e32 v19, v38, v19
	v_fmac_f16_e32 v14, -0.5, v39
	v_fmac_f16_e32 v42, 0x38b4, v18
	v_add_f16_e32 v21, v21, v23
	v_add_f16_e32 v23, v11, v6
	v_fma_f16 v22, -0.5, v22, v6
	v_sub_f16_e32 v38, v10, v7
	v_add_f16_e32 v45, v16, v11
	v_fmac_f16_e32 v28, 0x34f2, v40
	v_fmac_f16_e32 v0, 0x34f2, v40
	;; [unrolled: 1-line block ×3, first 2 shown]
	v_fmamk_f16 v24, v18, 0x3b9c, v14
	v_fmac_f16_e32 v42, 0x34f2, v19
	v_add_f16_e32 v19, v17, v23
	v_fmamk_f16 v23, v38, 0x3b9c, v22
	v_sub_f16_e32 v39, v9, v8
	v_sub_f16_e32 v40, v11, v17
	;; [unrolled: 1-line block ×3, first 2 shown]
	v_fmac_f16_e32 v14, 0xbb9c, v18
	v_fmac_f16_e32 v6, -0.5, v45
	v_fmac_f16_e32 v22, 0xbb9c, v38
	v_add_f16_e32 v45, v10, v12
	v_fmac_f16_e32 v24, 0xb8b4, v20
	v_add_f16_e32 v18, v13, v19
	;; [unrolled: 2-line block ×3, first 2 shown]
	v_fmac_f16_e32 v14, 0x38b4, v20
	v_fmamk_f16 v20, v39, 0xbb9c, v6
	v_sub_f16_e32 v40, v17, v11
	v_sub_f16_e32 v44, v13, v16
	v_fmac_f16_e32 v22, 0xb8b4, v39
	v_fmac_f16_e32 v6, 0x3b9c, v39
	v_add_f16_e32 v39, v9, v45
	v_add_f16_e32 v46, v8, v9
	v_mul_u32_u24_e32 v5, 0x177, v5
	v_add_f16_e32 v18, v16, v18
	v_fmac_f16_e32 v20, 0x38b4, v38
	v_add_f16_e32 v40, v44, v40
	v_sub_f16_e32 v11, v11, v16
	v_fmac_f16_e32 v6, 0xb8b4, v38
	v_add_f16_e32 v16, v8, v39
	v_fma_f16 v44, -0.5, v46, v12
	v_fmac_f16_e32 v23, 0x34f2, v19
	v_fmac_f16_e32 v22, 0x34f2, v19
	;; [unrolled: 1-line block ×3, first 2 shown]
	v_sub_f16_e32 v13, v17, v13
	v_sub_f16_e32 v17, v10, v9
	;; [unrolled: 1-line block ×3, first 2 shown]
	v_fmac_f16_e32 v6, 0x34f2, v40
	v_add_f16_e32 v39, v7, v10
	v_add_f16_e32 v40, v7, v16
	v_sub_f16_e32 v9, v9, v10
	v_sub_f16_e32 v7, v8, v7
	v_lshlrev_b32_e32 v5, 1, v5
	v_fmamk_f16 v38, v11, 0xbb9c, v44
	v_fmac_f16_e32 v44, 0x3b9c, v11
	v_fmac_f16_e32 v12, -0.5, v39
	v_add_f16_e32 v7, v7, v9
	v_add_nc_u32_e32 v10, 0, v5
	v_fmac_f16_e32 v38, 0xb8b4, v13
	v_add_f16_e32 v16, v19, v17
	v_fmac_f16_e32 v44, 0x38b4, v13
	v_mul_f16_e32 v45, 0x34f2, v7
	v_mad_u32_u24 v46, v3, 10, v10
	v_pack_b32_f16 v8, v34, v4
	v_pack_b32_f16 v7, v35, v43
	v_fmamk_f16 v39, v13, 0x3b9c, v12
	v_fmac_f16_e32 v12, 0xbb9c, v13
	v_add_nc_u32_e32 v9, 25, v3
	v_pack_b32_f16 v19, v20, v6
	v_pack_b32_f16 v18, v18, v23
	v_fmac_f16_e32 v38, 0x34f2, v16
	v_fmac_f16_e32 v44, 0x34f2, v16
	v_pack_b32_f16 v17, v28, v0
	v_pack_b32_f16 v16, v26, v32
	ds_store_b64 v46, v[7:8]
	ds_store_b16 v46, v36 offset:8
	ds_store_b64 v46, v[16:17] offset:250
	ds_store_b16 v46, v31 offset:258
	v_and_b32_e32 v16, 0xff, v3
	v_mul_f16_e32 v21, 0x34f2, v21
	v_fmac_f16_e32 v39, 0xb8b4, v11
	v_fmac_f16_e32 v12, 0x38b4, v11
	v_add_nc_u32_e32 v8, 50, v3
	ds_store_b64 v46, v[18:19] offset:500
	ds_store_b16 v46, v22 offset:508
	v_pack_b32_f16 v17, v24, v14
	v_and_b32_e32 v19, 0xff, v9
	v_mul_lo_u16 v18, 0xcd, v16
	v_pack_b32_f16 v20, v39, v12
	v_and_b32_e32 v12, 0xff, v8
	v_pk_add_f16 v17, v21, v17 op_sel_hi:[0,1]
	v_mul_lo_u16 v21, 0xcd, v19
	v_lshlrev_b32_e32 v4, 1, v3
	v_pack_b32_f16 v15, v33, v15
	v_pack_b32_f16 v14, v29, v37
	v_lshrrev_b16 v29, 10, v18
	v_pack_b32_f16 v16, v25, v30
	v_lshrrev_b16 v30, 10, v21
	v_mul_lo_u16 v21, 0xcd, v12
	v_add3_u32 v0, 0, v4, v5
	v_pk_add_f16 v15, v27, v15 op_sel_hi:[0,1]
	v_pk_add_f16 v19, v45, v20 op_sel_hi:[0,1]
	v_mul_lo_u16 v20, v29, 5
	v_lshrrev_b16 v33, 10, v21
	v_add_nc_u32_e32 v7, v10, v4
	global_wb scope:SCOPE_SE
	s_wait_dscnt 0x0
	s_barrier_signal -1
	s_barrier_wait -1
	global_inv scope:SCOPE_SE
	ds_load_u16 v31, v0 offset:200
	ds_load_u16 v32, v0 offset:350
	;; [unrolled: 1-line block ×3, first 2 shown]
	ds_load_u16 v13, v7
	ds_load_u16 v6, v0 offset:50
	ds_load_u16 v35, v0 offset:300
	;; [unrolled: 1-line block ×11, first 2 shown]
	global_wb scope:SCOPE_SE
	s_wait_dscnt 0x0
	s_barrier_signal -1
	s_barrier_wait -1
	global_inv scope:SCOPE_SE
	ds_store_b64 v46, v[14:15]
	ds_store_b16 v46, v41 offset:8
	ds_store_b64 v46, v[16:17] offset:250
	ds_store_b16 v46, v42 offset:258
	v_mul_lo_u16 v14, v30, 5
	v_sub_nc_u16 v15, v3, v20
	v_mul_lo_u16 v16, v33, 5
	v_pack_b32_f16 v18, v40, v38
	ds_store_b64 v46, v[18:19] offset:500
	ds_store_b16 v46, v44 offset:508
	v_sub_nc_u16 v14, v9, v14
	v_and_b32_e32 v37, 0xff, v15
	v_sub_nc_u16 v15, v8, v16
	global_wb scope:SCOPE_SE
	s_wait_dscnt 0x0
	s_barrier_signal -1
	v_and_b32_e32 v38, 0xff, v14
	v_lshlrev_b32_e32 v14, 4, v37
	v_and_b32_e32 v39, 0xff, v15
	s_barrier_wait -1
	global_inv scope:SCOPE_SE
	v_lshlrev_b32_e32 v15, 4, v38
	global_load_b128 v[17:20], v14, s[4:5]
	v_lshlrev_b32_e32 v14, 4, v39
	s_clause 0x1
	global_load_b128 v[21:24], v15, s[4:5]
	global_load_b128 v[25:28], v14, s[4:5]
	ds_load_u16 v40, v0 offset:150
	ds_load_u16 v41, v0 offset:200
	;; [unrolled: 1-line block ×5, first 2 shown]
	ds_load_u16 v16, v7
	ds_load_u16 v15, v0 offset:50
	ds_load_u16 v46, v0 offset:300
	;; [unrolled: 1-line block ×9, first 2 shown]
	global_wb scope:SCOPE_SE
	s_wait_loadcnt_dscnt 0x0
	s_barrier_signal -1
	s_barrier_wait -1
	global_inv scope:SCOPE_SE
	v_lshrrev_b32_e32 v59, 16, v17
	v_lshrrev_b32_e32 v60, 16, v18
	;; [unrolled: 1-line block ×12, first 2 shown]
	v_mul_f16_e32 v71, v40, v59
	v_mul_f16_e32 v59, v43, v59
	;; [unrolled: 1-line block ×24, first 2 shown]
	v_fma_f16 v43, v43, v17, -v71
	v_fmac_f16_e32 v59, v40, v17
	v_fma_f16 v17, v35, v18, -v72
	v_fmac_f16_e32 v60, v46, v18
	;; [unrolled: 2-line block ×12, first 2 shown]
	v_add_f16_e32 v28, v13, v43
	v_add_f16_e32 v31, v17, v18
	;; [unrolled: 1-line block ×4, first 2 shown]
	v_sub_f16_e32 v34, v60, v61
	v_sub_f16_e32 v35, v43, v17
	;; [unrolled: 1-line block ×5, first 2 shown]
	v_add_f16_e32 v44, v16, v59
	v_sub_f16_e32 v43, v43, v19
	v_sub_f16_e32 v46, v17, v18
	;; [unrolled: 1-line block ×4, first 2 shown]
	v_add_f16_e32 v49, v59, v62
	v_add_f16_e32 v17, v28, v17
	v_fma_f16 v28, -0.5, v31, v13
	v_fmac_f16_e32 v13, -0.5, v40
	v_fma_f16 v40, -0.5, v45, v16
	v_sub_f16_e32 v32, v59, v62
	v_sub_f16_e32 v50, v60, v59
	;; [unrolled: 1-line block ×3, first 2 shown]
	v_add_f16_e32 v31, v35, v36
	v_add_f16_e32 v35, v41, v42
	;; [unrolled: 1-line block ×4, first 2 shown]
	v_fmac_f16_e32 v16, -0.5, v49
	v_fmamk_f16 v48, v34, 0xbb9c, v13
	v_fmac_f16_e32 v13, 0x3b9c, v34
	v_fmamk_f16 v49, v43, 0xbb9c, v40
	v_fmac_f16_e32 v40, 0x3b9c, v43
	v_add_f16_e32 v52, v6, v20
	v_add_f16_e32 v53, v21, v22
	v_add_f16_e32 v58, v20, v23
	v_add_f16_e32 v42, v50, v51
	v_add_f16_e32 v17, v17, v18
	v_fmamk_f16 v18, v32, 0x3b9c, v28
	v_fmac_f16_e32 v28, 0xbb9c, v32
	v_add_f16_e32 v36, v36, v61
	v_fmamk_f16 v50, v46, 0x3b9c, v16
	v_fmac_f16_e32 v16, 0xbb9c, v46
	v_fmac_f16_e32 v48, 0x38b4, v32
	;; [unrolled: 1-line block ×5, first 2 shown]
	v_sub_f16_e32 v55, v64, v65
	v_add_f16_e32 v44, v52, v21
	v_fma_f16 v45, -0.5, v53, v6
	v_add_f16_e32 v17, v17, v19
	v_fmac_f16_e32 v18, 0x38b4, v34
	v_fmac_f16_e32 v28, 0xb8b4, v34
	v_add_f16_e32 v19, v36, v62
	v_fmac_f16_e32 v50, 0xb8b4, v43
	v_fmac_f16_e32 v16, 0x38b4, v43
	;; [unrolled: 1-line block ×6, first 2 shown]
	v_fmac_f16_e32 v6, -0.5, v58
	v_sub_f16_e32 v34, v21, v20
	v_sub_f16_e32 v35, v22, v23
	v_add_f16_e32 v36, v15, v63
	v_add_f16_e32 v41, v64, v65
	v_sub_f16_e32 v54, v63, v66
	v_sub_f16_e32 v56, v20, v21
	;; [unrolled: 1-line block ×3, first 2 shown]
	v_add_f16_e32 v44, v44, v22
	v_fmac_f16_e32 v50, 0x34f2, v42
	v_fmac_f16_e32 v16, 0x34f2, v42
	v_fmamk_f16 v32, v55, 0xbb9c, v6
	v_add_f16_e32 v34, v34, v35
	v_fmac_f16_e32 v6, 0x3b9c, v55
	v_add_f16_e32 v35, v36, v64
	v_fma_f16 v36, -0.5, v41, v15
	v_sub_f16_e32 v20, v20, v23
	v_add_f16_e32 v41, v63, v66
	v_sub_f16_e32 v21, v21, v22
	v_sub_f16_e32 v22, v63, v64
	;; [unrolled: 1-line block ×3, first 2 shown]
	v_fmamk_f16 v51, v54, 0x3b9c, v45
	v_fmac_f16_e32 v18, 0x34f2, v31
	v_fmac_f16_e32 v28, 0x34f2, v31
	v_add_f16_e32 v31, v44, v23
	v_fmac_f16_e32 v45, 0xbb9c, v54
	v_fmac_f16_e32 v32, 0x38b4, v54
	;; [unrolled: 1-line block ×3, first 2 shown]
	v_add_f16_e32 v23, v35, v65
	v_fmamk_f16 v35, v20, 0xbb9c, v36
	v_fmac_f16_e32 v15, -0.5, v41
	v_add_f16_e32 v22, v22, v42
	v_fmac_f16_e32 v36, 0x3b9c, v20
	v_sub_f16_e32 v41, v64, v63
	v_sub_f16_e32 v42, v65, v66
	v_add_f16_e32 v43, v25, v26
	v_add_f16_e32 v47, v56, v57
	v_fmac_f16_e32 v51, 0x38b4, v55
	v_fmac_f16_e32 v45, 0xb8b4, v55
	;; [unrolled: 1-line block ×5, first 2 shown]
	v_fmamk_f16 v34, v21, 0x3b9c, v15
	v_fmac_f16_e32 v36, 0x38b4, v21
	v_add_f16_e32 v41, v41, v42
	v_fmac_f16_e32 v15, 0xbb9c, v21
	v_add_f16_e32 v21, v11, v24
	v_fma_f16 v42, -0.5, v43, v11
	v_sub_f16_e32 v43, v67, v70
	v_fmac_f16_e32 v51, 0x34f2, v47
	v_fmac_f16_e32 v45, 0x34f2, v47
	;; [unrolled: 1-line block ×6, first 2 shown]
	v_add_f16_e32 v20, v21, v25
	v_fmamk_f16 v21, v43, 0x3b9c, v42
	v_sub_f16_e32 v22, v68, v69
	v_sub_f16_e32 v44, v24, v25
	;; [unrolled: 1-line block ×3, first 2 shown]
	v_fmac_f16_e32 v42, 0xbb9c, v43
	v_add_f16_e32 v47, v24, v27
	v_add_f16_e32 v20, v20, v26
	v_fmac_f16_e32 v21, 0x38b4, v22
	v_add_f16_e32 v44, v44, v46
	v_fmac_f16_e32 v42, 0xb8b4, v22
	v_fmac_f16_e32 v11, -0.5, v47
	v_sub_f16_e32 v46, v25, v24
	v_sub_f16_e32 v47, v26, v27
	v_add_f16_e32 v20, v20, v27
	v_fmac_f16_e32 v21, 0x34f2, v44
	v_fmac_f16_e32 v42, 0x34f2, v44
	v_add_f16_e32 v44, v68, v69
	v_sub_f16_e32 v24, v24, v27
	v_add_f16_e32 v27, v46, v47
	v_add_f16_e32 v46, v67, v70
	v_fmac_f16_e32 v34, 0x34f2, v41
	v_fmac_f16_e32 v15, 0x34f2, v41
	v_fmamk_f16 v41, v22, 0xbb9c, v11
	v_fmac_f16_e32 v11, 0x3b9c, v22
	v_add_f16_e32 v22, v14, v67
	v_fma_f16 v44, -0.5, v44, v14
	v_sub_f16_e32 v25, v25, v26
	v_fmac_f16_e32 v14, -0.5, v46
	v_fmac_f16_e32 v41, 0x38b4, v43
	v_fmac_f16_e32 v11, 0xb8b4, v43
	v_fmamk_f16 v43, v24, 0xbb9c, v44
	v_fmac_f16_e32 v44, 0x3b9c, v24
	v_fmamk_f16 v46, v25, 0x3b9c, v14
	v_sub_f16_e32 v47, v68, v67
	v_sub_f16_e32 v52, v69, v70
	v_fmac_f16_e32 v14, 0xbb9c, v25
	v_fmac_f16_e32 v41, 0x34f2, v27
	;; [unrolled: 1-line block ×4, first 2 shown]
	v_sub_f16_e32 v26, v67, v68
	v_sub_f16_e32 v27, v70, v69
	v_fmac_f16_e32 v44, 0x38b4, v25
	v_fmac_f16_e32 v46, 0xb8b4, v24
	v_add_f16_e32 v25, v47, v52
	v_fmac_f16_e32 v14, 0x38b4, v24
	v_add_f16_e32 v26, v26, v27
	v_and_b32_e32 v24, 0xffff, v29
	v_lshlrev_b32_e32 v27, 1, v38
	v_fmac_f16_e32 v46, 0x34f2, v25
	v_fmac_f16_e32 v14, 0x34f2, v25
	v_and_b32_e32 v25, 0xffff, v30
	v_fmac_f16_e32 v43, 0x34f2, v26
	v_fmac_f16_e32 v44, 0x34f2, v26
	v_mad_u32_u24 v24, v24, 50, 0
	v_lshlrev_b32_e32 v26, 1, v37
	v_mad_u32_u24 v25, v25, 50, 0
	v_and_b32_e32 v29, 0xffff, v33
	v_add_f16_e32 v22, v22, v68
	v_add_f16_e32 v23, v23, v66
	v_add3_u32 v24, v24, v26, v5
	v_add3_u32 v25, v25, v27, v5
	v_mad_u32_u24 v26, v29, 50, 0
	v_lshlrev_b32_e32 v27, 1, v39
	ds_store_b16 v24, v17
	ds_store_b16 v24, v18 offset:10
	ds_store_b16 v24, v48 offset:20
	;; [unrolled: 1-line block ×4, first 2 shown]
	v_add_f16_e32 v22, v22, v69
	v_add3_u32 v18, v26, v27, v5
	v_mul_lo_u16 v5, v12, 41
	ds_store_b16 v25, v31
	ds_store_b16 v25, v51 offset:10
	ds_store_b16 v25, v32 offset:20
	;; [unrolled: 1-line block ×4, first 2 shown]
	ds_store_b16 v18, v20
	ds_store_b16 v18, v21 offset:10
	ds_store_b16 v18, v41 offset:20
	ds_store_b16 v18, v11 offset:30
	ds_store_b16 v18, v42 offset:40
	v_mov_b32_e32 v6, 0
	global_wb scope:SCOPE_SE
	s_wait_dscnt 0x0
	s_barrier_signal -1
	v_lshrrev_b16 v12, 10, v5
	v_lshlrev_b32_e32 v5, 2, v3
	s_barrier_wait -1
	global_inv scope:SCOPE_SE
	ds_load_u16 v26, v0 offset:200
	ds_load_u16 v27, v0 offset:350
	;; [unrolled: 1-line block ×3, first 2 shown]
	ds_load_u16 v17, v7
	ds_load_u16 v11, v0 offset:50
	ds_load_u16 v29, v0 offset:300
	;; [unrolled: 1-line block ×11, first 2 shown]
	v_mul_lo_u16 v12, v12, 25
	global_wb scope:SCOPE_SE
	s_wait_dscnt 0x0
	s_barrier_signal -1
	s_barrier_wait -1
	global_inv scope:SCOPE_SE
	ds_store_b16 v24, v19
	ds_store_b16 v24, v49 offset:10
	ds_store_b16 v24, v50 offset:20
	;; [unrolled: 1-line block ×4, first 2 shown]
	ds_store_b16 v25, v23
	ds_store_b16 v25, v35 offset:10
	ds_store_b16 v25, v34 offset:20
	;; [unrolled: 1-line block ×4, first 2 shown]
	v_lshlrev_b64_e32 v[15:16], 2, v[5:6]
	v_sub_nc_u16 v5, v8, v12
	v_add_f16_e32 v22, v22, v70
	ds_store_b16 v18, v22
	ds_store_b16 v18, v43 offset:10
	ds_store_b16 v18, v46 offset:20
	;; [unrolled: 1-line block ×4, first 2 shown]
	v_and_b32_e32 v5, 0xff, v5
	v_add_co_u32 v14, s0, s4, v15
	s_wait_alu 0xf1ff
	v_add_co_ci_u32_e64 v15, s0, s5, v16, s0
	s_delay_alu instid0(VALU_DEP_3)
	v_lshlrev_b32_e32 v12, 4, v5
	global_wb scope:SCOPE_SE
	s_wait_dscnt 0x0
	s_barrier_signal -1
	s_barrier_wait -1
	global_inv scope:SCOPE_SE
	s_clause 0x1
	global_load_b128 v[18:21], v[14:15], off offset:80
	global_load_b128 v[22:25], v12, s[4:5] offset:80
	ds_load_u16 v12, v0 offset:600
	ds_load_u16 v14, v0 offset:150
	;; [unrolled: 1-line block ×7, first 2 shown]
	ds_load_u16 v40, v7
	ds_load_u16 v42, v0 offset:50
	ds_load_u16 v43, v0 offset:250
	;; [unrolled: 1-line block ×7, first 2 shown]
	global_wb scope:SCOPE_SE
	s_wait_loadcnt_dscnt 0x0
	s_barrier_signal -1
	s_barrier_wait -1
	global_inv scope:SCOPE_SE
	v_lshl_add_u32 v5, v5, 1, v10
	v_lshrrev_b32_e32 v49, 16, v18
	v_lshrrev_b32_e32 v50, 16, v19
	;; [unrolled: 1-line block ×8, first 2 shown]
	v_mul_f16_e32 v57, v14, v49
	v_mul_f16_e32 v58, v31, v49
	;; [unrolled: 1-line block ×24, first 2 shown]
	v_fma_f16 v31, v31, v18, -v57
	v_fmac_f16_e32 v58, v14, v18
	v_fma_f16 v14, v29, v19, -v59
	v_fmac_f16_e32 v60, v16, v19
	v_fma_f16 v16, v39, v20, -v61
	v_fma_f16 v29, v37, v21, -v63
	v_fmac_f16_e32 v62, v35, v20
	v_fmac_f16_e32 v64, v12, v21
	v_fma_f16 v12, v26, v18, -v65
	v_fmac_f16_e32 v49, v15, v18
	v_fma_f16 v15, v27, v19, -v66
	;; [unrolled: 2-line block ×8, first 2 shown]
	v_fmac_f16_e32 v56, v46, v25
	v_add_f16_e32 v24, v17, v31
	v_add_f16_e32 v25, v14, v16
	;; [unrolled: 1-line block ×3, first 2 shown]
	v_sub_f16_e32 v26, v58, v64
	v_sub_f16_e32 v27, v60, v62
	;; [unrolled: 1-line block ×9, first 2 shown]
	v_add_f16_e32 v46, v11, v12
	v_add_f16_e32 v14, v24, v14
	v_fma_f16 v24, -0.5, v25, v17
	v_fmac_f16_e32 v17, -0.5, v32
	v_add_f16_e32 v35, v40, v58
	v_add_f16_e32 v36, v60, v62
	v_sub_f16_e32 v38, v58, v60
	v_add_f16_e32 v41, v58, v64
	v_add_f16_e32 v47, v15, v18
	v_sub_f16_e32 v58, v12, v15
	v_sub_f16_e32 v63, v15, v12
	;; [unrolled: 1-line block ×3, first 2 shown]
	v_add_f16_e32 v25, v28, v30
	v_add_f16_e32 v28, v33, v34
	;; [unrolled: 1-line block ×5, first 2 shown]
	v_fmamk_f16 v16, v26, 0x3b9c, v24
	v_fmac_f16_e32 v24, 0xbb9c, v26
	v_fmamk_f16 v45, v27, 0xbb9c, v17
	v_fmac_f16_e32 v17, 0x3b9c, v27
	v_sub_f16_e32 v31, v31, v29
	v_add_f16_e32 v67, v50, v51
	v_add_f16_e32 v71, v49, v52
	v_fma_f16 v32, -0.5, v36, v40
	v_fmac_f16_e32 v40, -0.5, v41
	v_add_f16_e32 v15, v15, v18
	v_fmac_f16_e32 v16, 0x38b4, v27
	v_fmac_f16_e32 v24, 0xb8b4, v27
	;; [unrolled: 1-line block ×4, first 2 shown]
	v_sub_f16_e32 v39, v64, v62
	v_sub_f16_e32 v59, v19, v18
	v_add_f16_e32 v61, v12, v19
	v_sub_f16_e32 v65, v18, v19
	v_add_f16_e32 v66, v42, v49
	;; [unrolled: 2-line block ×3, first 2 shown]
	v_fma_f16 v35, -0.5, v47, v11
	v_fma_f16 v41, -0.5, v67, v42
	v_fmac_f16_e32 v42, -0.5, v71
	v_fmamk_f16 v46, v31, 0xbb9c, v32
	v_fmac_f16_e32 v32, 0x3b9c, v31
	v_fmamk_f16 v47, v37, 0x3b9c, v40
	v_fmac_f16_e32 v40, 0xbb9c, v37
	v_add_f16_e32 v15, v15, v19
	v_fmac_f16_e32 v16, 0x34f2, v25
	v_fmac_f16_e32 v24, 0x34f2, v25
	;; [unrolled: 1-line block ×4, first 2 shown]
	v_sub_f16_e32 v19, v50, v49
	v_sub_f16_e32 v25, v51, v52
	v_add_f16_e32 v28, v21, v22
	v_add_f16_e32 v33, v38, v39
	;; [unrolled: 1-line block ×3, first 2 shown]
	v_fmamk_f16 v60, v68, 0x3b9c, v42
	v_add_f16_e32 v14, v14, v29
	v_fmac_f16_e32 v46, 0xb8b4, v37
	v_fmac_f16_e32 v32, 0x38b4, v37
	;; [unrolled: 1-line block ×4, first 2 shown]
	v_add_f16_e32 v19, v19, v25
	v_fmac_f16_e32 v42, 0xbb9c, v68
	v_add_f16_e32 v25, v13, v20
	v_fma_f16 v28, -0.5, v28, v13
	v_sub_f16_e32 v29, v53, v56
	v_add_f16_e32 v36, v58, v59
	v_fmamk_f16 v59, v12, 0xbb9c, v41
	v_fmac_f16_e32 v41, 0x3b9c, v12
	v_add_f16_e32 v26, v30, v64
	v_fmac_f16_e32 v46, 0x34f2, v33
	v_fmac_f16_e32 v32, 0x34f2, v33
	;; [unrolled: 1-line block ×6, first 2 shown]
	v_add_f16_e32 v12, v25, v21
	v_fmamk_f16 v25, v29, 0x3b9c, v28
	v_sub_f16_e32 v30, v54, v55
	v_sub_f16_e32 v31, v20, v21
	;; [unrolled: 1-line block ×3, first 2 shown]
	v_fmac_f16_e32 v28, 0xbb9c, v29
	v_add_f16_e32 v34, v20, v23
	v_sub_f16_e32 v48, v49, v52
	v_add_f16_e32 v12, v12, v22
	v_fmac_f16_e32 v25, 0x38b4, v30
	v_add_f16_e32 v31, v31, v33
	v_fmac_f16_e32 v28, 0xb8b4, v30
	v_fmac_f16_e32 v13, -0.5, v34
	v_sub_f16_e32 v33, v21, v20
	v_sub_f16_e32 v34, v22, v23
	;; [unrolled: 1-line block ×3, first 2 shown]
	v_fmamk_f16 v18, v48, 0x3b9c, v35
	v_fmac_f16_e32 v35, 0xbb9c, v48
	v_fmac_f16_e32 v60, 0x34f2, v19
	;; [unrolled: 1-line block ×3, first 2 shown]
	v_add_f16_e32 v12, v12, v23
	v_fmac_f16_e32 v25, 0x34f2, v31
	v_fmac_f16_e32 v28, 0x34f2, v31
	v_fmamk_f16 v19, v30, 0xbb9c, v13
	v_add_f16_e32 v31, v54, v55
	v_fmac_f16_e32 v13, 0x3b9c, v30
	v_add_f16_e32 v30, v44, v53
	v_sub_f16_e32 v20, v20, v23
	v_add_f16_e32 v23, v33, v34
	v_add_f16_e32 v33, v53, v56
	v_fmac_f16_e32 v11, -0.5, v61
	v_fmac_f16_e32 v18, 0x38b4, v57
	v_fmac_f16_e32 v35, 0xb8b4, v57
	v_fma_f16 v31, -0.5, v31, v44
	v_fmac_f16_e32 v19, 0x38b4, v29
	v_fmac_f16_e32 v13, 0xb8b4, v29
	v_add_f16_e32 v29, v30, v54
	v_sub_f16_e32 v21, v21, v22
	v_fmac_f16_e32 v44, -0.5, v33
	v_fmamk_f16 v58, v57, 0xbb9c, v11
	v_fmac_f16_e32 v11, 0x3b9c, v57
	v_fmac_f16_e32 v18, 0x34f2, v36
	;; [unrolled: 1-line block ×3, first 2 shown]
	v_fmamk_f16 v30, v20, 0xbb9c, v31
	v_fmac_f16_e32 v19, 0x34f2, v23
	v_fmac_f16_e32 v13, 0x34f2, v23
	v_add_f16_e32 v22, v29, v55
	v_sub_f16_e32 v23, v53, v54
	v_sub_f16_e32 v29, v56, v55
	v_fmac_f16_e32 v31, 0x3b9c, v20
	v_fmamk_f16 v33, v21, 0x3b9c, v44
	v_sub_f16_e32 v34, v54, v53
	v_sub_f16_e32 v36, v55, v56
	v_fmac_f16_e32 v44, 0xbb9c, v21
	v_add_f16_e32 v38, v63, v65
	v_fmac_f16_e32 v11, 0xb8b4, v48
	v_fmac_f16_e32 v58, 0x38b4, v48
	;; [unrolled: 1-line block ×3, first 2 shown]
	v_add_f16_e32 v23, v23, v29
	v_fmac_f16_e32 v31, 0x38b4, v21
	v_fmac_f16_e32 v33, 0xb8b4, v20
	v_add_f16_e32 v21, v34, v36
	v_fmac_f16_e32 v44, 0x38b4, v20
	v_fmac_f16_e32 v11, 0x34f2, v38
	;; [unrolled: 1-line block ×3, first 2 shown]
	v_add_f16_e32 v29, v22, v56
	v_fmac_f16_e32 v30, 0x34f2, v23
	v_fmac_f16_e32 v31, 0x34f2, v23
	;; [unrolled: 1-line block ×4, first 2 shown]
	ds_store_b16 v0, v14
	ds_store_b16 v0, v16 offset:50
	ds_store_b16 v0, v45 offset:100
	;; [unrolled: 1-line block ×14, first 2 shown]
	global_wb scope:SCOPE_SE
	s_wait_dscnt 0x0
	s_barrier_signal -1
	s_barrier_wait -1
	global_inv scope:SCOPE_SE
	ds_load_u16 v12, v0 offset:300
	ds_load_u16 v15, v0 offset:350
	ds_load_u16 v17, v7
	ds_load_u16 v10, v0 offset:50
	ds_load_u16 v11, v0 offset:100
	;; [unrolled: 1-line block ×12, first 2 shown]
	v_sub_f16_e32 v69, v49, v50
	v_sub_f16_e32 v70, v52, v51
	v_add_f16_e32 v39, v66, v50
	v_fmac_f16_e32 v59, 0xb8b4, v68
	v_fmac_f16_e32 v41, 0x38b4, v68
	global_wb scope:SCOPE_SE
	s_wait_dscnt 0x0
	v_add_f16_e32 v43, v69, v70
	v_add_f16_e32 v39, v39, v51
	s_barrier_signal -1
	s_barrier_wait -1
	global_inv scope:SCOPE_SE
	v_fmac_f16_e32 v59, 0x34f2, v43
	v_add_f16_e32 v27, v39, v52
	v_fmac_f16_e32 v41, 0x34f2, v43
	ds_store_b16 v0, v26
	ds_store_b16 v0, v46 offset:50
	ds_store_b16 v0, v47 offset:100
	;; [unrolled: 1-line block ×14, first 2 shown]
	global_wb scope:SCOPE_SE
	s_wait_dscnt 0x0
	s_barrier_signal -1
	s_barrier_wait -1
	global_inv scope:SCOPE_SE
	s_and_saveexec_b32 s0, vcc_lo
	s_cbranch_execz .LBB0_12
; %bb.11:
	v_dual_mov_b32 v5, v6 :: v_dual_add_nc_u32 v36, 0x4b, v3
	v_add_nc_u32_e32 v35, 0x64, v3
	s_delay_alu instid0(VALU_DEP_2) | instskip(NEXT) | instid1(VALU_DEP_2)
	v_lshlrev_b64_e32 v[25:26], 2, v[4:5]
	v_lshlrev_b32_e32 v5, 1, v35
	s_delay_alu instid0(VALU_DEP_2) | instskip(NEXT) | instid1(VALU_DEP_2)
	v_add_co_u32 v25, vcc_lo, s4, v25
	v_lshlrev_b64_e32 v[27:28], 2, v[5:6]
	v_lshlrev_b32_e32 v5, 1, v36
	s_wait_alu 0xfffd
	v_add_co_ci_u32_e32 v26, vcc_lo, s5, v26, vcc_lo
	s_delay_alu instid0(VALU_DEP_2) | instskip(NEXT) | instid1(VALU_DEP_4)
	v_lshlrev_b64_e32 v[4:5], 2, v[5:6]
	v_add_co_u32 v27, vcc_lo, s4, v27
	s_wait_alu 0xfffd
	v_add_co_ci_u32_e32 v28, vcc_lo, s5, v28, vcc_lo
	global_load_b64 v[25:26], v[25:26], off offset:480
	v_add_co_u32 v29, vcc_lo, s4, v4
	s_wait_alu 0xfffd
	v_add_co_ci_u32_e32 v30, vcc_lo, s5, v5, vcc_lo
	v_lshlrev_b32_e32 v5, 1, v8
	s_clause 0x1
	global_load_b64 v[27:28], v[27:28], off offset:480
	global_load_b64 v[29:30], v[29:30], off offset:480
	v_lshlrev_b64_e32 v[4:5], 2, v[5:6]
	s_delay_alu instid0(VALU_DEP_1) | instskip(SKIP_1) | instid1(VALU_DEP_2)
	v_add_co_u32 v4, vcc_lo, s4, v4
	s_wait_alu 0xfffd
	v_add_co_ci_u32_e32 v5, vcc_lo, s5, v5, vcc_lo
	global_load_b64 v[31:32], v[4:5], off offset:480
	v_lshlrev_b32_e32 v5, 1, v9
	s_delay_alu instid0(VALU_DEP_1) | instskip(NEXT) | instid1(VALU_DEP_1)
	v_lshlrev_b64_e32 v[4:5], 2, v[5:6]
	v_add_co_u32 v4, vcc_lo, s4, v4
	s_wait_alu 0xfffd
	s_delay_alu instid0(VALU_DEP_2)
	v_add_co_ci_u32_e32 v5, vcc_lo, s5, v5, vcc_lo
	global_load_b64 v[33:34], v[4:5], off offset:480
	v_mul_hi_u32 v5, 0x10624dd3, v8
	v_mul_hi_u32 v8, 0x10624dd3, v36
	ds_load_u16 v9, v0 offset:700
	ds_load_u16 v37, v0 offset:650
	;; [unrolled: 1-line block ×13, first 2 shown]
	v_mov_b32_e32 v4, v6
	ds_load_u16 v48, v0 offset:50
	ds_load_u16 v49, v7
	v_mul_hi_u32 v0, 0x10624dd3, v35
	v_lshrrev_b32_e32 v5, 3, v5
	v_lshrrev_b32_e32 v7, 3, v8
	v_lshlrev_b64_e32 v[3:4], 2, v[3:4]
	v_add_co_u32 v8, vcc_lo, s8, v1
	s_delay_alu instid0(VALU_DEP_4)
	v_mul_u32_u24_e32 v5, 0xfa, v5
	s_wait_alu 0xfffd
	v_add_co_ci_u32_e32 v35, vcc_lo, s9, v2, vcc_lo
	v_lshrrev_b32_e32 v50, 3, v0
	v_add_co_u32 v2, vcc_lo, v8, v3
	v_lshlrev_b64_e32 v[0:1], 2, v[5:6]
	v_mul_u32_u24_e32 v5, 0xfa, v7
	s_wait_alu 0xfffd
	v_add_co_ci_u32_e32 v3, vcc_lo, v35, v4, vcc_lo
	s_delay_alu instid0(VALU_DEP_2) | instskip(SKIP_4) | instid1(VALU_DEP_3)
	v_lshlrev_b64_e32 v[7:8], 2, v[5:6]
	v_mul_u32_u24_e32 v5, 0xfa, v50
	v_add_co_u32 v0, vcc_lo, v2, v0
	s_wait_alu 0xfffd
	v_add_co_ci_u32_e32 v1, vcc_lo, v3, v1, vcc_lo
	v_lshlrev_b64_e32 v[4:5], 2, v[5:6]
	v_add_co_u32 v6, vcc_lo, v2, v7
	s_wait_alu 0xfffd
	v_add_co_ci_u32_e32 v7, vcc_lo, v3, v8, vcc_lo
	s_delay_alu instid0(VALU_DEP_3)
	v_add_co_u32 v4, vcc_lo, v2, v4
	s_wait_alu 0xfffd
	v_add_co_ci_u32_e32 v5, vcc_lo, v3, v5, vcc_lo
	s_wait_loadcnt 0x4
	v_lshrrev_b32_e32 v8, 16, v25
	v_lshrrev_b32_e32 v35, 16, v26
	s_wait_dscnt 0x5
	s_delay_alu instid0(VALU_DEP_2)
	v_mul_f16_e32 v52, v45, v8
	s_wait_loadcnt 0x3
	v_lshrrev_b32_e32 v50, 16, v27
	v_lshrrev_b32_e32 v51, 16, v28
	v_mul_f16_e32 v53, v40, v35
	v_mul_f16_e32 v8, v21, v8
	;; [unrolled: 1-line block ×7, first 2 shown]
	s_wait_loadcnt 0x2
	v_lshrrev_b32_e32 v56, 16, v29
	v_lshrrev_b32_e32 v57, 16, v30
	v_fma_f16 v21, v21, v25, -v52
	v_fma_f16 v24, v24, v26, -v53
	v_fmac_f16_e32 v8, v25, v45
	v_fmac_f16_e32 v35, v26, v40
	v_fma_f16 v23, v23, v27, -v54
	v_fma_f16 v22, v22, v28, -v55
	v_fmac_f16_e32 v50, v27, v41
	v_fmac_f16_e32 v51, v28, v9
	v_mul_f16_e32 v9, v42, v56
	v_mul_f16_e32 v25, v37, v57
	;; [unrolled: 1-line block ×3, first 2 shown]
	s_wait_loadcnt 0x1
	v_lshrrev_b32_e32 v28, 16, v31
	v_lshrrev_b32_e32 v40, 16, v32
	v_mul_f16_e32 v26, v19, v56
	v_add_f16_e32 v45, v8, v35
	v_add_f16_e32 v53, v21, v24
	v_fma_f16 v9, v19, v29, -v9
	v_fma_f16 v19, v20, v30, -v25
	v_fmac_f16_e32 v27, v30, v37
	v_mul_f16_e32 v20, v43, v28
	v_mul_f16_e32 v25, v38, v40
	v_mul_f16_e32 v28, v15, v28
	v_sub_f16_e32 v54, v23, v22
	v_add_f16_e32 v57, v23, v22
	v_add_f16_e32 v23, v18, v23
	s_wait_loadcnt 0x0
	v_lshrrev_b32_e32 v30, 16, v33
	v_lshrrev_b32_e32 v37, 16, v34
	v_fmac_f16_e32 v26, v29, v42
	v_mul_f16_e32 v29, v16, v40
	v_sub_f16_e32 v41, v21, v24
	s_wait_dscnt 0x0
	v_add_f16_e32 v52, v8, v49
	v_sub_f16_e32 v8, v8, v35
	v_add_f16_e32 v21, v17, v21
	v_fma_f16 v40, -0.5, v45, v49
	v_fma_f16 v17, -0.5, v53, v17
	v_fma_f16 v15, v15, v31, -v20
	v_fma_f16 v16, v16, v32, -v25
	v_fmac_f16_e32 v28, v31, v43
	v_mul_f16_e32 v20, v44, v30
	v_mul_f16_e32 v25, v39, v37
	;; [unrolled: 1-line block ×4, first 2 shown]
	v_add_f16_e32 v55, v50, v51
	v_add_f16_e32 v22, v23, v22
	v_sub_f16_e32 v23, v9, v19
	v_add_f16_e32 v42, v26, v27
	v_add_f16_e32 v49, v9, v19
	;; [unrolled: 1-line block ×3, first 2 shown]
	v_fmac_f16_e32 v29, v32, v38
	v_add_f16_e32 v45, v26, v46
	v_fmamk_f16 v32, v41, 0x3aee, v40
	v_fmamk_f16 v37, v8, 0xbaee, v17
	v_fma_f16 v12, v12, v33, -v20
	v_fma_f16 v13, v13, v34, -v25
	v_fmac_f16_e32 v30, v33, v44
	v_fmac_f16_e32 v31, v34, v39
	v_add_f16_e32 v56, v50, v36
	v_sub_f16_e32 v50, v50, v51
	v_add_f16_e32 v35, v35, v52
	v_add_f16_e32 v21, v21, v24
	v_fma_f16 v24, -0.5, v55, v36
	v_fma_f16 v18, -0.5, v57, v18
	v_sub_f16_e32 v26, v26, v27
	v_fmac_f16_e32 v40, 0xbaee, v41
	v_fma_f16 v38, -0.5, v42, v46
	v_fma_f16 v14, -0.5, v49, v14
	v_add_f16_e32 v9, v9, v19
	v_sub_f16_e32 v19, v15, v16
	v_add_f16_e32 v41, v28, v29
	v_add_f16_e32 v43, v15, v16
	;; [unrolled: 1-line block ×5, first 2 shown]
	v_pack_b32_f16 v20, v37, v32
	v_add_f16_e32 v32, v30, v31
	v_add_f16_e32 v34, v12, v13
	v_fmac_f16_e32 v17, 0x3aee, v8
	v_pack_b32_f16 v8, v21, v35
	v_fmamk_f16 v21, v54, 0x3aee, v24
	v_fmac_f16_e32 v24, 0xbaee, v54
	v_fmamk_f16 v35, v50, 0xbaee, v18
	v_fmac_f16_e32 v18, 0x3aee, v50
	v_sub_f16_e32 v28, v28, v29
	v_fmamk_f16 v25, v23, 0x3aee, v38
	v_fmac_f16_e32 v38, 0xbaee, v23
	v_fmamk_f16 v23, v26, 0xbaee, v14
	v_fmac_f16_e32 v14, 0x3aee, v26
	v_fma_f16 v26, -0.5, v41, v47
	v_fma_f16 v11, -0.5, v43, v11
	v_add_f16_e32 v15, v15, v16
	v_sub_f16_e32 v16, v12, v13
	v_add_f16_e32 v33, v30, v48
	v_add_f16_e32 v12, v10, v12
	;; [unrolled: 1-line block ×3, first 2 shown]
	v_sub_f16_e32 v30, v30, v31
	v_pack_b32_f16 v9, v9, v27
	v_fma_f16 v27, -0.5, v32, v48
	v_fma_f16 v10, -0.5, v34, v10
	v_pack_b32_f16 v18, v18, v24
	v_fmamk_f16 v24, v19, 0x3aee, v26
	v_fmac_f16_e32 v26, 0xbaee, v19
	v_fmamk_f16 v19, v28, 0xbaee, v11
	v_fmac_f16_e32 v11, 0x3aee, v28
	v_add_f16_e32 v28, v31, v33
	v_add_f16_e32 v12, v12, v13
	v_pack_b32_f16 v13, v15, v29
	v_fmamk_f16 v15, v16, 0x3aee, v27
	v_fmac_f16_e32 v27, 0xbaee, v16
	v_fmamk_f16 v16, v30, 0xbaee, v10
	v_fmac_f16_e32 v10, 0x3aee, v30
	v_add_f16_e32 v36, v51, v56
	v_pack_b32_f16 v17, v17, v40
	v_pack_b32_f16 v12, v12, v28
	;; [unrolled: 1-line block ×8, first 2 shown]
	global_store_b32 v[2:3], v8, off
	v_pack_b32_f16 v8, v11, v26
	v_pack_b32_f16 v11, v19, v24
	s_clause 0xd
	global_store_b32 v[2:3], v17, off offset:500
	global_store_b32 v[2:3], v12, off offset:100
	;; [unrolled: 1-line block ×14, first 2 shown]
.LBB0_12:
	s_nop 0
	s_sendmsg sendmsg(MSG_DEALLOC_VGPRS)
	s_endpgm
	.section	.rodata,"a",@progbits
	.p2align	6, 0x0
	.amdhsa_kernel fft_rtc_fwd_len375_factors_5_5_5_3_wgs_125_tpt_25_halfLds_half_ip_CI_unitstride_sbrr_dirReg
		.amdhsa_group_segment_fixed_size 0
		.amdhsa_private_segment_fixed_size 0
		.amdhsa_kernarg_size 88
		.amdhsa_user_sgpr_count 2
		.amdhsa_user_sgpr_dispatch_ptr 0
		.amdhsa_user_sgpr_queue_ptr 0
		.amdhsa_user_sgpr_kernarg_segment_ptr 1
		.amdhsa_user_sgpr_dispatch_id 0
		.amdhsa_user_sgpr_private_segment_size 0
		.amdhsa_wavefront_size32 1
		.amdhsa_uses_dynamic_stack 0
		.amdhsa_enable_private_segment 0
		.amdhsa_system_sgpr_workgroup_id_x 1
		.amdhsa_system_sgpr_workgroup_id_y 0
		.amdhsa_system_sgpr_workgroup_id_z 0
		.amdhsa_system_sgpr_workgroup_info 0
		.amdhsa_system_vgpr_workitem_id 0
		.amdhsa_next_free_vgpr 83
		.amdhsa_next_free_sgpr 32
		.amdhsa_reserve_vcc 1
		.amdhsa_float_round_mode_32 0
		.amdhsa_float_round_mode_16_64 0
		.amdhsa_float_denorm_mode_32 3
		.amdhsa_float_denorm_mode_16_64 3
		.amdhsa_fp16_overflow 0
		.amdhsa_workgroup_processor_mode 1
		.amdhsa_memory_ordered 1
		.amdhsa_forward_progress 0
		.amdhsa_round_robin_scheduling 0
		.amdhsa_exception_fp_ieee_invalid_op 0
		.amdhsa_exception_fp_denorm_src 0
		.amdhsa_exception_fp_ieee_div_zero 0
		.amdhsa_exception_fp_ieee_overflow 0
		.amdhsa_exception_fp_ieee_underflow 0
		.amdhsa_exception_fp_ieee_inexact 0
		.amdhsa_exception_int_div_zero 0
	.end_amdhsa_kernel
	.text
.Lfunc_end0:
	.size	fft_rtc_fwd_len375_factors_5_5_5_3_wgs_125_tpt_25_halfLds_half_ip_CI_unitstride_sbrr_dirReg, .Lfunc_end0-fft_rtc_fwd_len375_factors_5_5_5_3_wgs_125_tpt_25_halfLds_half_ip_CI_unitstride_sbrr_dirReg
                                        ; -- End function
	.section	.AMDGPU.csdata,"",@progbits
; Kernel info:
; codeLenInByte = 8848
; NumSgprs: 34
; NumVgprs: 83
; ScratchSize: 0
; MemoryBound: 0
; FloatMode: 240
; IeeeMode: 1
; LDSByteSize: 0 bytes/workgroup (compile time only)
; SGPRBlocks: 4
; VGPRBlocks: 10
; NumSGPRsForWavesPerEU: 34
; NumVGPRsForWavesPerEU: 83
; Occupancy: 16
; WaveLimiterHint : 1
; COMPUTE_PGM_RSRC2:SCRATCH_EN: 0
; COMPUTE_PGM_RSRC2:USER_SGPR: 2
; COMPUTE_PGM_RSRC2:TRAP_HANDLER: 0
; COMPUTE_PGM_RSRC2:TGID_X_EN: 1
; COMPUTE_PGM_RSRC2:TGID_Y_EN: 0
; COMPUTE_PGM_RSRC2:TGID_Z_EN: 0
; COMPUTE_PGM_RSRC2:TIDIG_COMP_CNT: 0
	.text
	.p2alignl 7, 3214868480
	.fill 96, 4, 3214868480
	.type	__hip_cuid_698c47e3afbf8818,@object ; @__hip_cuid_698c47e3afbf8818
	.section	.bss,"aw",@nobits
	.globl	__hip_cuid_698c47e3afbf8818
__hip_cuid_698c47e3afbf8818:
	.byte	0                               ; 0x0
	.size	__hip_cuid_698c47e3afbf8818, 1

	.ident	"AMD clang version 19.0.0git (https://github.com/RadeonOpenCompute/llvm-project roc-6.4.0 25133 c7fe45cf4b819c5991fe208aaa96edf142730f1d)"
	.section	".note.GNU-stack","",@progbits
	.addrsig
	.addrsig_sym __hip_cuid_698c47e3afbf8818
	.amdgpu_metadata
---
amdhsa.kernels:
  - .args:
      - .actual_access:  read_only
        .address_space:  global
        .offset:         0
        .size:           8
        .value_kind:     global_buffer
      - .offset:         8
        .size:           8
        .value_kind:     by_value
      - .actual_access:  read_only
        .address_space:  global
        .offset:         16
        .size:           8
        .value_kind:     global_buffer
      - .actual_access:  read_only
        .address_space:  global
        .offset:         24
        .size:           8
        .value_kind:     global_buffer
      - .offset:         32
        .size:           8
        .value_kind:     by_value
      - .actual_access:  read_only
        .address_space:  global
        .offset:         40
        .size:           8
        .value_kind:     global_buffer
      - .actual_access:  read_only
        .address_space:  global
        .offset:         48
        .size:           8
        .value_kind:     global_buffer
      - .offset:         56
        .size:           4
        .value_kind:     by_value
      - .actual_access:  read_only
        .address_space:  global
        .offset:         64
        .size:           8
        .value_kind:     global_buffer
      - .actual_access:  read_only
        .address_space:  global
        .offset:         72
        .size:           8
        .value_kind:     global_buffer
      - .address_space:  global
        .offset:         80
        .size:           8
        .value_kind:     global_buffer
    .group_segment_fixed_size: 0
    .kernarg_segment_align: 8
    .kernarg_segment_size: 88
    .language:       OpenCL C
    .language_version:
      - 2
      - 0
    .max_flat_workgroup_size: 125
    .name:           fft_rtc_fwd_len375_factors_5_5_5_3_wgs_125_tpt_25_halfLds_half_ip_CI_unitstride_sbrr_dirReg
    .private_segment_fixed_size: 0
    .sgpr_count:     34
    .sgpr_spill_count: 0
    .symbol:         fft_rtc_fwd_len375_factors_5_5_5_3_wgs_125_tpt_25_halfLds_half_ip_CI_unitstride_sbrr_dirReg.kd
    .uniform_work_group_size: 1
    .uses_dynamic_stack: false
    .vgpr_count:     83
    .vgpr_spill_count: 0
    .wavefront_size: 32
    .workgroup_processor_mode: 1
amdhsa.target:   amdgcn-amd-amdhsa--gfx1201
amdhsa.version:
  - 1
  - 2
...

	.end_amdgpu_metadata
